;; amdgpu-corpus repo=ROCm/rocFFT kind=compiled arch=gfx1030 opt=O3
	.text
	.amdgcn_target "amdgcn-amd-amdhsa--gfx1030"
	.amdhsa_code_object_version 6
	.protected	bluestein_single_back_len594_dim1_sp_op_CI_CI ; -- Begin function bluestein_single_back_len594_dim1_sp_op_CI_CI
	.globl	bluestein_single_back_len594_dim1_sp_op_CI_CI
	.p2align	8
	.type	bluestein_single_back_len594_dim1_sp_op_CI_CI,@function
bluestein_single_back_len594_dim1_sp_op_CI_CI: ; @bluestein_single_back_len594_dim1_sp_op_CI_CI
; %bb.0:
	s_load_dwordx4 s[0:3], s[4:5], 0x28
	v_mul_u32_u24_e32 v1, 0x296, v0
	v_mov_b32_e32 v45, 0
	v_lshrrev_b32_e32 v1, 16, v1
	v_add_nc_u32_e32 v44, s6, v1
	s_waitcnt lgkmcnt(0)
	v_cmp_gt_u64_e32 vcc_lo, s[0:1], v[44:45]
	s_and_saveexec_b32 s0, vcc_lo
	s_cbranch_execz .LBB0_15
; %bb.1:
	s_clause 0x1
	s_load_dwordx2 s[14:15], s[4:5], 0x0
	s_load_dwordx2 s[12:13], s[4:5], 0x38
	v_mul_lo_u16 v1, 0x63, v1
	v_sub_nc_u16 v0, v0, v1
	v_and_b32_e32 v50, 0xffff, v0
	v_cmp_gt_u16_e32 vcc_lo, 54, v0
	v_lshlrev_b32_e32 v49, 3, v50
	s_and_saveexec_b32 s1, vcc_lo
	s_cbranch_execz .LBB0_3
; %bb.2:
	s_load_dwordx2 s[6:7], s[4:5], 0x18
	s_waitcnt lgkmcnt(0)
	v_add_co_u32 v16, s0, s14, v49
	v_add_co_ci_u32_e64 v17, null, s15, 0, s0
	v_add_nc_u32_e32 v47, 0x400, v49
	v_add_nc_u32_e32 v48, 0x800, v49
	s_load_dwordx4 s[8:11], s[6:7], 0x0
	s_waitcnt lgkmcnt(0)
	v_mad_u64_u32 v[0:1], null, s10, v44, 0
	v_mad_u64_u32 v[2:3], null, s8, v50, 0
	s_mul_i32 s6, s9, 0x1b0
	s_mul_hi_u32 s7, s8, 0x1b0
	s_add_i32 s7, s7, s6
	v_mad_u64_u32 v[4:5], null, s11, v44, v[1:2]
	v_mad_u64_u32 v[5:6], null, s9, v50, v[3:4]
	v_mov_b32_e32 v1, v4
	v_add_co_u32 v4, s0, 0x800, v16
	s_clause 0x4
	global_load_dwordx2 v[6:7], v49, s[14:15]
	global_load_dwordx2 v[8:9], v49, s[14:15] offset:432
	global_load_dwordx2 v[10:11], v49, s[14:15] offset:864
	;; [unrolled: 1-line block ×4, first 2 shown]
	v_lshlrev_b64 v[0:1], 3, v[0:1]
	v_mov_b32_e32 v3, v5
	v_add_co_ci_u32_e64 v5, s0, 0, v17, s0
	s_clause 0x3
	global_load_dwordx2 v[20:21], v[4:5], off offset:112
	global_load_dwordx2 v[22:23], v[4:5], off offset:544
	;; [unrolled: 1-line block ×4, first 2 shown]
	v_lshlrev_b64 v[2:3], 3, v[2:3]
	v_add_co_u32 v0, s0, s2, v0
	v_add_co_ci_u32_e64 v1, s0, s3, v1, s0
	s_mul_i32 s2, s8, 0x1b0
	v_add_co_u32 v0, s0, v0, v2
	v_add_co_ci_u32_e64 v1, s0, v1, v3, s0
	v_add_co_u32 v2, s0, v0, s2
	v_add_co_ci_u32_e64 v3, s0, s7, v1, s0
	;; [unrolled: 2-line block ×4, first 2 shown]
	s_clause 0x1
	global_load_dwordx2 v[0:1], v[0:1], off
	global_load_dwordx2 v[2:3], v[2:3], off
	v_add_co_u32 v28, s0, v18, s2
	v_add_co_ci_u32_e64 v29, s0, s7, v19, s0
	v_add_co_u32 v30, s0, v28, s2
	v_add_co_ci_u32_e64 v31, s0, s7, v29, s0
	s_clause 0x1
	global_load_dwordx2 v[18:19], v[18:19], off
	global_load_dwordx2 v[28:29], v[28:29], off
	v_add_co_u32 v32, s0, v30, s2
	v_add_co_ci_u32_e64 v33, s0, s7, v31, s0
	global_load_dwordx2 v[30:31], v[30:31], off
	v_add_co_u32 v34, s0, v32, s2
	v_add_co_ci_u32_e64 v35, s0, s7, v33, s0
	;; [unrolled: 3-line block ×6, first 2 shown]
	global_load_dwordx2 v[4:5], v[4:5], off offset:1840
	global_load_dwordx2 v[40:41], v[40:41], off
	global_load_dwordx2 v[16:17], v[16:17], off offset:224
	global_load_dwordx2 v[42:43], v[42:43], off
	s_waitcnt vmcnt(12)
	v_mul_f32_e32 v45, v1, v7
	v_mul_f32_e32 v46, v0, v7
	s_waitcnt vmcnt(11)
	v_mul_f32_e32 v7, v3, v9
	v_mul_f32_e32 v9, v2, v9
	v_fmac_f32_e32 v45, v0, v6
	v_fma_f32 v46, v1, v6, -v46
	v_fmac_f32_e32 v7, v2, v8
	v_fma_f32 v8, v3, v8, -v9
	s_waitcnt vmcnt(10)
	v_mul_f32_e32 v0, v19, v11
	v_mul_f32_e32 v1, v18, v11
	s_waitcnt vmcnt(9)
	v_mul_f32_e32 v2, v29, v13
	v_mul_f32_e32 v3, v28, v13
	ds_write2_b64 v49, v[45:46], v[7:8] offset1:54
	v_fmac_f32_e32 v0, v18, v10
	s_waitcnt vmcnt(8)
	v_mul_f32_e32 v6, v31, v15
	v_mul_f32_e32 v7, v30, v15
	v_fma_f32 v1, v19, v10, -v1
	v_fmac_f32_e32 v2, v28, v12
	v_fma_f32 v3, v29, v12, -v3
	s_waitcnt vmcnt(7)
	v_mul_f32_e32 v8, v33, v21
	v_mul_f32_e32 v9, v32, v21
	v_fmac_f32_e32 v6, v30, v14
	v_fma_f32 v7, v31, v14, -v7
	s_waitcnt vmcnt(6)
	v_mul_f32_e32 v10, v35, v23
	v_mul_f32_e32 v11, v34, v23
	;; [unrolled: 5-line block ×4, first 2 shown]
	v_fmac_f32_e32 v12, v36, v24
	s_waitcnt vmcnt(2)
	v_mul_f32_e32 v18, v41, v5
	v_mul_f32_e32 v5, v40, v5
	s_waitcnt vmcnt(0)
	v_mul_f32_e32 v20, v43, v17
	v_mul_f32_e32 v17, v42, v17
	v_fma_f32 v13, v37, v24, -v13
	v_fmac_f32_e32 v14, v38, v26
	v_fma_f32 v15, v39, v26, -v15
	v_fmac_f32_e32 v18, v40, v4
	;; [unrolled: 2-line block ×3, first 2 shown]
	v_fma_f32 v21, v43, v16, -v17
	ds_write2_b64 v49, v[0:1], v[2:3] offset0:108 offset1:162
	ds_write2_b64 v47, v[6:7], v[8:9] offset0:88 offset1:142
	;; [unrolled: 1-line block ×4, first 2 shown]
	ds_write_b64 v49, v[20:21] offset:4320
.LBB0_3:
	s_or_b32 exec_lo, exec_lo, s1
	s_clause 0x1
	s_load_dwordx2 s[2:3], s[4:5], 0x20
	s_load_dwordx2 s[0:1], s[4:5], 0x8
	v_mov_b32_e32 v16, 0
	v_mov_b32_e32 v17, 0
	s_waitcnt lgkmcnt(0)
	s_barrier
	buffer_gl0_inv
                                        ; implicit-def: $vgpr8
                                        ; implicit-def: $vgpr12
                                        ; implicit-def: $vgpr28
                                        ; implicit-def: $vgpr22
                                        ; implicit-def: $vgpr26
	s_and_saveexec_b32 s4, vcc_lo
	s_cbranch_execz .LBB0_5
; %bb.4:
	v_add_nc_u32_e32 v0, 0x400, v49
	v_add_nc_u32_e32 v1, 0x800, v49
	ds_read2_b64 v[16:19], v49 offset1:54
	ds_read2_b64 v[24:27], v49 offset0:108 offset1:162
	ds_read2_b64 v[20:23], v0 offset0:88 offset1:142
	;; [unrolled: 1-line block ×4, first 2 shown]
	ds_read_b64 v[28:29], v49 offset:4320
.LBB0_5:
	s_or_b32 exec_lo, exec_lo, s4
	s_waitcnt lgkmcnt(0)
	v_sub_f32_e32 v4, v18, v28
	v_sub_f32_e32 v1, v19, v29
	v_add_f32_e32 v54, v29, v19
	v_sub_f32_e32 v6, v24, v14
	v_add_f32_e32 v53, v28, v18
	v_mul_f32_e32 v31, 0xbf0a6770, v4
	v_mul_f32_e32 v30, 0xbf0a6770, v1
	v_sub_f32_e32 v5, v25, v15
	v_add_f32_e32 v47, v15, v25
	v_mul_f32_e32 v33, 0xbf68dda4, v6
	v_fma_f32 v2, 0x3f575c64, v54, -v31
	v_sub_f32_e32 v52, v26, v12
	v_add_f32_e32 v42, v14, v24
	v_fmamk_f32 v0, v53, 0x3f575c64, v30
	v_mul_f32_e32 v32, 0xbf68dda4, v5
	v_add_f32_e32 v2, v2, v17
	v_sub_f32_e32 v7, v27, v13
	v_fma_f32 v36, 0x3ed4b147, v47, -v33
	v_add_f32_e32 v56, v13, v27
	v_mul_f32_e32 v35, 0xbf7d64f0, v52
	v_sub_f32_e32 v89, v20, v10
	v_add_f32_e32 v0, v0, v16
	v_fmamk_f32 v3, v42, 0x3ed4b147, v32
	v_add_f32_e32 v55, v12, v26
	v_mul_f32_e32 v34, 0xbf7d64f0, v7
	v_add_f32_e32 v2, v36, v2
	v_sub_f32_e32 v86, v21, v11
	v_fma_f32 v39, 0xbe11bafb, v56, -v35
	v_add_f32_e32 v62, v11, v21
	v_mul_f32_e32 v38, 0xbf4178ce, v89
	v_mul_f32_e32 v37, 0xbf68dda4, v1
	v_add_f32_e32 v0, v3, v0
	v_fmamk_f32 v3, v55, 0xbe11bafb, v34
	v_add_f32_e32 v61, v10, v20
	v_mul_f32_e32 v36, 0xbf4178ce, v86
	v_add_f32_e32 v2, v39, v2
	v_sub_f32_e32 v96, v23, v9
	v_sub_f32_e32 v97, v22, v8
	v_fma_f32 v41, 0xbf27a4f4, v62, -v38
	v_mul_f32_e32 v57, 0xbf68dda4, v4
	v_add_f32_e32 v0, v3, v0
	v_fmamk_f32 v3, v61, 0xbf27a4f4, v36
	v_add_f32_e32 v63, v8, v22
	v_add_f32_e32 v64, v9, v23
	v_mul_f32_e32 v39, 0xbe903f40, v96
	v_mul_f32_e32 v40, 0xbe903f40, v97
	v_fmamk_f32 v43, v53, 0x3ed4b147, v37
	v_add_f32_e32 v2, v41, v2
	v_mul_f32_e32 v48, 0xbf4178ce, v5
	v_fma_f32 v41, 0x3ed4b147, v54, -v57
	v_mul_f32_e32 v59, 0xbf4178ce, v6
	v_add_f32_e32 v0, v3, v0
	v_fmamk_f32 v3, v63, 0xbf75a155, v39
	v_fma_f32 v46, 0xbf75a155, v64, -v40
	v_add_f32_e32 v43, v43, v16
	v_fmamk_f32 v60, v42, 0xbf27a4f4, v48
	v_add_f32_e32 v41, v41, v17
	v_mul_f32_e32 v51, 0x3e903f40, v7
	v_fma_f32 v65, 0xbf27a4f4, v47, -v59
	v_mul_f32_e32 v58, 0x3e903f40, v52
	v_mul_f32_e32 v70, 0xbf7d64f0, v1
	v_add_f32_e32 v45, v3, v0
	v_add_f32_e32 v0, v60, v43
	v_fmamk_f32 v3, v55, 0xbf75a155, v51
	v_add_f32_e32 v43, v65, v41
	v_fma_f32 v65, 0xbf75a155, v56, -v58
	v_mul_f32_e32 v41, 0x3f7d64f0, v86
	v_add_f32_e32 v46, v46, v2
	v_fmamk_f32 v2, v53, 0xbe11bafb, v70
	v_mul_f32_e32 v66, 0x3e903f40, v5
	v_add_f32_e32 v0, v3, v0
	v_add_f32_e32 v3, v65, v43
	v_fmamk_f32 v43, v61, 0xbe11bafb, v41
	v_add_f32_e32 v2, v2, v16
	v_fmamk_f32 v68, v42, 0xbf75a155, v66
	v_mul_f32_e32 v67, 0x3f68dda4, v7
	v_mul_f32_e32 v72, 0xbf7d64f0, v4
	;; [unrolled: 1-line block ×3, first 2 shown]
	v_add_f32_e32 v0, v43, v0
	v_mul_f32_e32 v43, 0x3f0a6770, v96
	v_add_f32_e32 v2, v68, v2
	v_fmamk_f32 v69, v55, 0x3ed4b147, v67
	v_mul_f32_e32 v68, 0xbf0a6770, v86
	v_fma_f32 v73, 0xbe11bafb, v54, -v72
	v_mul_f32_e32 v71, 0x3e903f40, v6
	v_fma_f32 v65, 0xbe11bafb, v62, -v60
	v_fmamk_f32 v74, v63, 0x3f575c64, v43
	v_add_f32_e32 v76, v69, v2
	v_fmamk_f32 v77, v61, 0x3f575c64, v68
	v_add_f32_e32 v78, v73, v17
	v_fma_f32 v79, 0xbf75a155, v47, -v71
	v_mul_f32_e32 v73, 0x3f68dda4, v52
	v_add_f32_e32 v3, v65, v3
	v_mul_f32_e32 v65, 0x3f0a6770, v97
	v_mul_f32_e32 v69, 0xbf4178ce, v96
	v_add_f32_e32 v2, v74, v0
	v_add_f32_e32 v0, v77, v76
	;; [unrolled: 1-line block ×3, first 2 shown]
	v_fma_f32 v78, 0x3ed4b147, v56, -v73
	v_mul_f32_e32 v81, 0xbf4178ce, v4
	v_fma_f32 v75, 0x3f575c64, v64, -v65
	v_fmamk_f32 v74, v63, 0xbf27a4f4, v69
	v_mul_f32_e32 v76, 0xbf4178ce, v1
	v_add_f32_e32 v80, v78, v77
	v_fma_f32 v77, 0xbf27a4f4, v54, -v81
	v_mul_f32_e32 v83, 0x3f7d64f0, v6
	v_add_f32_e32 v3, v75, v3
	v_add_f32_e32 v0, v74, v0
	v_fmamk_f32 v75, v53, 0xbf27a4f4, v76
	v_mul_f32_e32 v79, 0x3f7d64f0, v5
	v_mul_f32_e32 v74, 0xbf0a6770, v89
	v_add_f32_e32 v82, v77, v17
	v_fma_f32 v85, 0xbe11bafb, v47, -v83
	v_mul_f32_e32 v84, 0xbf0a6770, v52
	v_add_f32_e32 v75, v75, v16
	v_fmamk_f32 v78, v42, 0xbe11bafb, v79
	v_mul_f32_e32 v77, 0xbf0a6770, v7
	v_fma_f32 v87, 0x3f575c64, v62, -v74
	v_add_f32_e32 v85, v85, v82
	v_fma_f32 v91, 0x3f575c64, v56, -v84
	v_mul_f32_e32 v82, 0xbe903f40, v89
	v_add_f32_e32 v88, v78, v75
	v_fmamk_f32 v90, v55, 0x3f575c64, v77
	v_mul_f32_e32 v78, 0xbe903f40, v86
	v_add_f32_e32 v85, v91, v85
	v_fma_f32 v91, 0xbf75a155, v62, -v82
	v_add_f32_e32 v98, v87, v80
	v_mul_f32_e32 v87, 0xbe903f40, v1
	v_mul_f32_e32 v94, 0xbe903f40, v4
	v_add_f32_e32 v88, v90, v88
	v_fmamk_f32 v90, v61, 0xbf75a155, v78
	v_add_f32_e32 v101, v91, v85
	v_fmamk_f32 v1, v53, 0xbf75a155, v87
	v_mul_f32_e32 v91, 0x3f0a6770, v5
	v_fma_f32 v5, 0xbf75a155, v54, -v94
	v_mul_f32_e32 v95, 0x3f0a6770, v6
	v_add_f32_e32 v100, v90, v88
	v_add_f32_e32 v1, v1, v16
	v_fmamk_f32 v6, v42, 0x3f575c64, v91
	v_mul_f32_e32 v90, 0xbf4178ce, v7
	v_add_f32_e32 v5, v5, v17
	v_fma_f32 v7, 0x3f575c64, v47, -v95
	v_mul_f32_e32 v93, 0xbf4178ce, v52
	v_add_f32_e32 v1, v6, v1
	v_fmamk_f32 v6, v55, 0xbf27a4f4, v90
	v_mul_f32_e32 v88, 0x3f68dda4, v86
	v_add_f32_e32 v5, v7, v5
	v_fma_f32 v7, 0xbf27a4f4, v56, -v93
	v_mul_f32_e32 v92, 0x3f68dda4, v89
	v_mul_f32_e32 v75, 0xbf4178ce, v97
	;; [unrolled: 1-line block ×4, first 2 shown]
	v_add_f32_e32 v1, v6, v1
	v_fmamk_f32 v6, v61, 0x3ed4b147, v88
	v_mul_f32_e32 v86, 0xbf7d64f0, v96
	v_add_f32_e32 v5, v7, v5
	v_fma_f32 v7, 0x3ed4b147, v62, -v92
	v_mul_f32_e32 v89, 0xbf7d64f0, v97
	v_fma_f32 v99, 0xbf27a4f4, v64, -v75
	v_fmamk_f32 v4, v63, 0x3ed4b147, v80
	v_fma_f32 v52, 0x3ed4b147, v64, -v85
	v_add_f32_e32 v96, v6, v1
	v_fmamk_f32 v97, v63, 0xbe11bafb, v86
	v_add_f32_e32 v5, v7, v5
	v_fma_f32 v102, 0xbe11bafb, v64, -v89
	v_add_f32_e32 v1, v99, v98
	v_add_f32_e32 v6, v4, v100
	;; [unrolled: 1-line block ×5, first 2 shown]
	v_mul_lo_u16 v52, v50, 11
	s_barrier
	buffer_gl0_inv
	s_and_saveexec_b32 s4, vcc_lo
	s_cbranch_execz .LBB0_7
; %bb.6:
	v_mul_f32_e32 v97, 0x3f575c64, v54
	v_mul_f32_e32 v99, 0x3ed4b147, v54
	;; [unrolled: 1-line block ×9, first 2 shown]
	v_add_f32_e32 v54, v94, v54
	v_mul_f32_e32 v94, 0x3f575c64, v47
	v_mul_f32_e32 v53, 0xbf75a155, v53
	;; [unrolled: 1-line block ×4, first 2 shown]
	v_add_f32_e32 v54, v54, v17
	v_add_f32_e32 v94, v95, v94
	v_mul_f32_e32 v106, 0xbf27a4f4, v42
	v_mul_f32_e32 v108, 0xbf75a155, v42
	;; [unrolled: 1-line block ×4, first 2 shown]
	v_add_f32_e32 v54, v94, v54
	v_sub_f32_e32 v53, v53, v87
	v_add_f32_e32 v93, v93, v110
	v_mul_f32_e32 v105, 0x3ed4b147, v47
	v_sub_f32_e32 v42, v42, v91
	v_mul_f32_e32 v107, 0xbf27a4f4, v47
	v_add_f32_e32 v53, v53, v16
	v_add_f32_e32 v54, v93, v54
	v_mul_f32_e32 v93, 0xbf27a4f4, v55
	v_mul_f32_e32 v109, 0xbf75a155, v47
	;; [unrolled: 1-line block ×3, first 2 shown]
	v_add_f32_e32 v42, v42, v53
	v_mul_f32_e32 v110, 0x3ed4b147, v62
	v_sub_f32_e32 v53, v93, v90
	v_mul_f32_e32 v87, 0xbe11bafb, v56
	v_mul_f32_e32 v90, 0x3ed4b147, v56
	v_add_f32_e32 v47, v83, v47
	v_add_f32_e32 v92, v92, v110
	;; [unrolled: 1-line block ×4, first 2 shown]
	v_mul_f32_e32 v110, 0xbf75a155, v56
	v_mul_f32_e32 v56, 0x3f575c64, v56
	v_add_f32_e32 v54, v92, v54
	v_mul_f32_e32 v92, 0x3ed4b147, v61
	v_add_f32_e32 v53, v53, v17
	;; [unrolled: 2-line block ×3, first 2 shown]
	v_add_f32_e32 v19, v19, v17
	v_add_f32_e32 v18, v18, v16
	;; [unrolled: 1-line block ×3, first 2 shown]
	v_mul_f32_e32 v94, 0xbe11bafb, v55
	v_mul_f32_e32 v91, 0xbf75a155, v55
	;; [unrolled: 1-line block ×4, first 2 shown]
	v_add_f32_e32 v47, v56, v47
	v_sub_f32_e32 v56, v102, v76
	v_sub_f32_e32 v88, v92, v88
	v_mul_f32_e32 v92, 0xbf27a4f4, v62
	v_add_f32_e32 v81, v89, v81
	v_mul_f32_e32 v89, 0xbe11bafb, v62
	v_mul_f32_e32 v84, 0x3f575c64, v62
	;; [unrolled: 1-line block ×3, first 2 shown]
	v_sub_f32_e32 v79, v95, v79
	v_add_f32_e32 v56, v56, v16
	v_add_f32_e32 v19, v25, v19
	;; [unrolled: 1-line block ×3, first 2 shown]
	v_mul_f32_e32 v93, 0xbf27a4f4, v61
	v_mul_f32_e32 v83, 0xbe11bafb, v61
	v_add_f32_e32 v42, v88, v42
	v_mul_f32_e32 v88, 0x3f575c64, v61
	v_mul_f32_e32 v53, 0xbe11bafb, v63
	;; [unrolled: 1-line block ×4, first 2 shown]
	v_add_f32_e32 v62, v82, v62
	v_mul_f32_e32 v82, 0x3f575c64, v64
	v_add_f32_e32 v72, v72, v101
	v_mul_f32_e32 v101, 0xbf27a4f4, v64
	v_mul_f32_e32 v64, 0x3ed4b147, v64
	v_add_f32_e32 v56, v79, v56
	v_sub_f32_e32 v55, v55, v77
	v_add_f32_e32 v19, v27, v19
	v_add_f32_e32 v24, v26, v24
	v_sub_f32_e32 v53, v53, v86
	v_add_f32_e32 v47, v62, v47
	v_add_f32_e32 v62, v85, v64
	;; [unrolled: 1-line block ×3, first 2 shown]
	v_sub_f32_e32 v56, v61, v78
	v_add_f32_e32 v19, v21, v19
	v_add_f32_e32 v20, v20, v24
	;; [unrolled: 1-line block ×5, first 2 shown]
	v_sub_f32_e32 v55, v100, v70
	v_add_f32_e32 v57, v57, v99
	v_sub_f32_e32 v37, v98, v37
	v_add_f32_e32 v31, v31, v97
	;; [unrolled: 2-line block ×3, first 2 shown]
	v_add_f32_e32 v20, v22, v20
	v_mul_f32_e32 v86, 0xbf75a155, v63
	v_mul_f32_e32 v76, 0x3f575c64, v63
	;; [unrolled: 1-line block ×4, first 2 shown]
	v_add_f32_e32 v72, v72, v17
	v_add_f32_e32 v55, v55, v16
	;; [unrolled: 1-line block ×7, first 2 shown]
	v_sub_f32_e32 v24, v104, v32
	v_add_f32_e32 v9, v9, v19
	v_add_f32_e32 v8, v8, v20
	;; [unrolled: 1-line block ×3, first 2 shown]
	v_sub_f32_e32 v62, v63, v80
	v_sub_f32_e32 v63, v108, v66
	v_add_f32_e32 v59, v59, v107
	v_sub_f32_e32 v48, v106, v48
	v_add_f32_e32 v17, v21, v17
	v_add_f32_e32 v21, v35, v87
	;; [unrolled: 1-line block ×3, first 2 shown]
	v_sub_f32_e32 v19, v94, v34
	v_add_f32_e32 v9, v11, v9
	v_add_f32_e32 v8, v10, v8
	;; [unrolled: 1-line block ×5, first 2 shown]
	v_sub_f32_e32 v63, v111, v67
	v_add_f32_e32 v57, v59, v57
	v_add_f32_e32 v58, v58, v110
	v_add_f32_e32 v37, v48, v37
	v_sub_f32_e32 v48, v91, v51
	v_add_f32_e32 v17, v21, v17
	v_add_f32_e32 v20, v38, v92
	v_add_f32_e32 v10, v19, v16
	;; [unrolled: 4-line block ×3, first 2 shown]
	v_add_f32_e32 v61, v74, v84
	v_add_f32_e32 v55, v63, v55
	v_sub_f32_e32 v59, v88, v68
	v_add_f32_e32 v57, v58, v57
	v_add_f32_e32 v58, v60, v89
	v_add_f32_e32 v37, v48, v37
	v_sub_f32_e32 v41, v83, v41
	v_add_f32_e32 v16, v20, v17
	;; [unrolled: 4-line block ×3, first 2 shown]
	v_add_f32_e32 v14, v14, v8
	v_mov_b32_e32 v15, 3
	v_add_f32_e32 v56, v61, v56
	v_add_f32_e32 v61, v75, v101
	v_add_f32_e32 v55, v59, v55
	v_sub_f32_e32 v59, v95, v69
	v_add_f32_e32 v51, v58, v57
	v_add_f32_e32 v57, v65, v82
	;; [unrolled: 1-line block ×3, first 2 shown]
	v_sub_f32_e32 v26, v76, v43
	v_add_f32_e32 v9, v12, v16
	v_add_f32_e32 v8, v11, v10
	;; [unrolled: 1-line block ×4, first 2 shown]
	v_lshlrev_b32_sdwa v12, v15, v52 dst_sel:DWORD dst_unused:UNUSED_PAD src0_sel:DWORD src1_sel:WORD_0
	v_add_f32_e32 v56, v61, v56
	v_add_f32_e32 v55, v59, v55
	;; [unrolled: 1-line block ×6, first 2 shown]
	ds_write2_b64 v12, v[10:11], v[8:9] offset1:1
	ds_write2_b64 v12, v[17:18], v[55:56] offset0:2 offset1:3
	ds_write2_b64 v12, v[41:42], v[53:54] offset0:4 offset1:5
	;; [unrolled: 1-line block ×4, first 2 shown]
	ds_write_b64 v12, v[45:46] offset:80
.LBB0_7:
	s_or_b32 exec_lo, exec_lo, s4
	v_and_b32_e32 v16, 0xff, v50
	v_add_co_u32 v36, null, 0x63, v50
	s_load_dwordx4 s[4:7], s[2:3], 0x0
	s_waitcnt lgkmcnt(0)
	v_mul_lo_u16 v8, 0x75, v16
	v_and_b32_e32 v9, 0xff, v36
	s_barrier
	buffer_gl0_inv
	v_mov_b32_e32 v17, 3
	v_lshrrev_b16 v8, 8, v8
	v_mul_lo_u16 v9, 0x75, v9
	v_mul_lo_u16 v16, 0xf9, v16
	v_mov_b32_e32 v27, 33
	v_lshlrev_b32_sdwa v51, v17, v50 dst_sel:DWORD dst_unused:UNUSED_PAD src0_sel:DWORD src1_sel:WORD_0
	v_sub_nc_u16 v10, v50, v8
	v_lshrrev_b16 v9, 8, v9
	v_lshrrev_b16 v37, 13, v16
	v_mov_b32_e32 v39, 0xc6
	v_add_nc_u32_e32 v56, 0x400, v51
	v_lshrrev_b16 v10, 1, v10
	v_sub_nc_u16 v11, v36, v9
	v_add_nc_u32_e32 v57, 0x800, v51
	v_mul_lo_u16 v26, v37, 33
	ds_read2_b64 v[16:19], v56 offset0:70 offset1:169
	v_and_b32_e32 v10, 0x7f, v10
	v_lshrrev_b16 v11, 1, v11
	ds_read2_b64 v[20:23], v57 offset0:140 offset1:239
	v_sub_nc_u16 v26, v50, v26
	v_mul_u32_u24_sdwa v37, v37, v39 dst_sel:DWORD dst_unused:UNUSED_PAD src0_sel:WORD_0 src1_sel:DWORD
	v_add_nc_u16 v8, v10, v8
	v_and_b32_e32 v10, 0x7f, v11
	v_lshlrev_b32_e32 v39, 4, v50
	v_and_b32_e32 v38, 0xff, v26
	v_lshrrev_b16 v24, 3, v8
	v_add_nc_u16 v8, v10, v9
	v_mad_u64_u32 v[28:29], null, v38, 40, s[0:1]
	v_mul_lo_u16 v9, v24, 11
	v_lshrrev_b16 v25, 3, v8
	v_mul_u32_u24_sdwa v32, v24, v27 dst_sel:DWORD dst_unused:UNUSED_PAD src0_sel:WORD_0 src1_sel:DWORD
	v_add_lshl_u32 v55, v37, v38, 3
	v_sub_nc_u16 v8, v50, v9
	v_mul_lo_u16 v9, v25, 11
	v_mul_u32_u24_sdwa v33, v25, v27 dst_sel:DWORD dst_unused:UNUSED_PAD src0_sel:WORD_0 src1_sel:DWORD
	ds_read2_b64 v[24:27], v51 offset1:99
	v_and_b32_e32 v30, 0xff, v8
	v_sub_nc_u16 v8, v36, v9
	v_lshlrev_b32_e32 v36, 4, v36
	v_lshlrev_b32_e32 v9, 4, v30
	v_and_b32_e32 v31, 0xff, v8
	v_add_lshl_u32 v54, v32, v30, 3
	global_load_dwordx4 v[12:15], v9, s[0:1]
	v_lshlrev_b32_e32 v8, 4, v31
	v_add_lshl_u32 v53, v33, v31, 3
	global_load_dwordx4 v[8:11], v8, s[0:1]
	s_waitcnt vmcnt(0) lgkmcnt(0)
	s_barrier
	buffer_gl0_inv
	v_mul_f32_e32 v30, v17, v13
	v_mul_f32_e32 v31, v16, v13
	;; [unrolled: 1-line block ×4, first 2 shown]
	v_fma_f32 v16, v16, v12, -v30
	v_fmac_f32_e32 v31, v17, v12
	v_fma_f32 v17, v20, v14, -v32
	v_mul_f32_e32 v20, v19, v9
	v_mul_f32_e32 v30, v18, v9
	;; [unrolled: 1-line block ×4, first 2 shown]
	v_fmac_f32_e32 v33, v21, v14
	v_fma_f32 v20, v18, v8, -v20
	v_fmac_f32_e32 v30, v19, v8
	v_fma_f32 v22, v22, v10, -v32
	v_fmac_f32_e32 v34, v23, v10
	v_add_f32_e32 v18, v24, v16
	v_add_f32_e32 v19, v16, v17
	v_sub_f32_e32 v21, v31, v33
	v_add_f32_e32 v23, v25, v31
	v_add_f32_e32 v31, v31, v33
	v_sub_f32_e32 v32, v16, v17
	v_add_f32_e32 v16, v18, v17
	v_fma_f32 v18, -0.5, v19, v24
	v_add_f32_e32 v24, v20, v22
	v_fma_f32 v19, -0.5, v31, v25
	v_sub_f32_e32 v25, v30, v34
	v_add_f32_e32 v31, v27, v30
	v_add_f32_e32 v30, v30, v34
	;; [unrolled: 1-line block ×4, first 2 shown]
	v_sub_f32_e32 v33, v20, v22
	v_fma_f32 v26, -0.5, v24, v26
	v_fmac_f32_e32 v27, -0.5, v30
	v_fmamk_f32 v20, v21, 0x3f5db3d7, v18
	v_fmac_f32_e32 v18, 0xbf5db3d7, v21
	v_fmamk_f32 v21, v32, 0xbf5db3d7, v19
	v_fmac_f32_e32 v19, 0x3f5db3d7, v32
	v_add_f32_e32 v22, v23, v22
	v_add_f32_e32 v23, v31, v34
	v_fmamk_f32 v24, v25, 0x3f5db3d7, v26
	v_fmac_f32_e32 v26, 0xbf5db3d7, v25
	v_fmamk_f32 v25, v33, 0xbf5db3d7, v27
	v_fmac_f32_e32 v27, 0x3f5db3d7, v33
	ds_write2_b64 v54, v[16:17], v[20:21] offset1:11
	ds_write_b64 v54, v[18:19] offset:176
	ds_write2_b64 v53, v[22:23], v[24:25] offset1:11
	ds_write_b64 v53, v[26:27] offset:176
	s_waitcnt lgkmcnt(0)
	s_barrier
	buffer_gl0_inv
	s_clause 0x2
	global_load_dwordx4 v[20:23], v[28:29], off offset:176
	global_load_dwordx4 v[16:19], v[28:29], off offset:192
	global_load_dwordx2 v[47:48], v[28:29], off offset:208
	ds_read2_b64 v[24:27], v51 offset1:99
	ds_read2_b64 v[28:31], v56 offset0:70 offset1:169
	ds_read2_b64 v[32:35], v57 offset0:140 offset1:239
	s_waitcnt vmcnt(0) lgkmcnt(0)
	s_barrier
	buffer_gl0_inv
	v_mul_f32_e32 v37, v27, v21
	v_mul_f32_e32 v38, v26, v21
	;; [unrolled: 1-line block ×10, first 2 shown]
	v_fma_f32 v37, v26, v20, -v37
	v_fmac_f32_e32 v38, v27, v20
	v_fma_f32 v26, v28, v22, -v40
	v_fmac_f32_e32 v41, v29, v22
	;; [unrolled: 2-line block ×5, first 2 shown]
	v_add_f32_e32 v33, v25, v41
	v_add_f32_e32 v31, v26, v28
	v_sub_f32_e32 v32, v41, v59
	v_add_f32_e32 v34, v41, v59
	v_add_f32_e32 v40, v27, v29
	v_sub_f32_e32 v41, v43, v61
	v_add_f32_e32 v42, v38, v43
	v_add_f32_e32 v43, v43, v61
	;; [unrolled: 1-line block ×4, first 2 shown]
	v_sub_f32_e32 v27, v27, v29
	v_fma_f32 v58, -0.5, v31, v24
	v_fmac_f32_e32 v37, -0.5, v40
	v_fmac_f32_e32 v38, -0.5, v43
	v_sub_f32_e32 v26, v26, v28
	v_add_f32_e32 v28, v30, v28
	v_add_f32_e32 v30, v33, v59
	v_fma_f32 v59, -0.5, v34, v25
	v_fmamk_f32 v33, v32, 0x3f5db3d7, v58
	v_fmac_f32_e32 v58, 0xbf5db3d7, v32
	v_fmamk_f32 v32, v41, 0x3f5db3d7, v37
	v_fmamk_f32 v34, v27, 0xbf5db3d7, v38
	v_fmac_f32_e32 v37, 0xbf5db3d7, v41
	v_fmac_f32_e32 v38, 0x3f5db3d7, v27
	v_add_f32_e32 v31, v42, v61
	v_mul_f32_e32 v42, 0xbf5db3d7, v32
	v_mul_f32_e32 v40, 0x3f5db3d7, v34
	v_mul_f32_e32 v41, -0.5, v37
	v_mul_f32_e32 v43, -0.5, v38
	v_add_f32_e32 v29, v35, v29
	v_fmamk_f32 v35, v26, 0xbf5db3d7, v59
	v_fmac_f32_e32 v40, 0.5, v32
	v_fmac_f32_e32 v42, 0.5, v34
	v_fmac_f32_e32 v59, 0x3f5db3d7, v26
	v_fmac_f32_e32 v41, 0x3f5db3d7, v38
	;; [unrolled: 1-line block ×3, first 2 shown]
	v_add_f32_e32 v24, v28, v29
	v_add_f32_e32 v25, v30, v31
	v_sub_f32_e32 v26, v28, v29
	v_add_f32_e32 v28, v33, v40
	v_add_f32_e32 v29, v35, v42
	v_sub_f32_e32 v27, v30, v31
	;; [unrolled: 3-line block ×3, first 2 shown]
	v_sub_f32_e32 v34, v58, v41
	v_sub_f32_e32 v33, v35, v42
	;; [unrolled: 1-line block ×3, first 2 shown]
	ds_write2_b64 v55, v[24:25], v[28:29] offset1:33
	ds_write2_b64 v55, v[30:31], v[26:27] offset0:66 offset1:99
	ds_write2_b64 v55, v[32:33], v[34:35] offset0:132 offset1:165
	s_waitcnt lgkmcnt(0)
	s_barrier
	buffer_gl0_inv
	s_clause 0x1
	global_load_dwordx4 v[28:31], v39, s[0:1] offset:1496
	global_load_dwordx4 v[24:27], v36, s[0:1] offset:1496
	ds_read2_b64 v[32:35], v56 offset0:70 offset1:169
	ds_read2_b64 v[40:43], v57 offset0:140 offset1:239
	ds_read2_b64 v[36:39], v51 offset1:99
	s_waitcnt vmcnt(1) lgkmcnt(2)
	v_mul_f32_e32 v58, v33, v29
	v_mul_f32_e32 v59, v32, v29
	s_waitcnt lgkmcnt(1)
	v_mul_f32_e32 v60, v41, v31
	v_mul_f32_e32 v61, v40, v31
	s_waitcnt vmcnt(0)
	v_mul_f32_e32 v62, v35, v25
	v_mul_f32_e32 v63, v34, v25
	v_mul_f32_e32 v64, v43, v27
	v_mul_f32_e32 v65, v42, v27
	v_fma_f32 v32, v32, v28, -v58
	v_fmac_f32_e32 v59, v33, v28
	v_fma_f32 v33, v40, v30, -v60
	v_fmac_f32_e32 v61, v41, v30
	;; [unrolled: 2-line block ×4, first 2 shown]
	s_waitcnt lgkmcnt(0)
	v_add_f32_e32 v40, v36, v32
	v_add_f32_e32 v41, v32, v33
	;; [unrolled: 1-line block ×4, first 2 shown]
	v_sub_f32_e32 v64, v63, v65
	v_add_f32_e32 v66, v39, v63
	v_add_f32_e32 v63, v63, v65
	v_sub_f32_e32 v58, v59, v61
	v_add_f32_e32 v42, v37, v59
	v_sub_f32_e32 v59, v32, v33
	;; [unrolled: 2-line block ×3, first 2 shown]
	v_add_f32_e32 v32, v40, v33
	v_fma_f32 v40, -0.5, v41, v36
	v_fma_f32 v41, -0.5, v43, v37
	;; [unrolled: 1-line block ×3, first 2 shown]
	v_fmac_f32_e32 v39, -0.5, v63
	v_add_f32_e32 v33, v42, v61
	v_add_f32_e32 v42, v60, v35
	;; [unrolled: 1-line block ×3, first 2 shown]
	v_fmamk_f32 v34, v58, 0x3f5db3d7, v40
	v_fmac_f32_e32 v40, 0xbf5db3d7, v58
	v_fmamk_f32 v35, v59, 0xbf5db3d7, v41
	v_fmac_f32_e32 v41, 0x3f5db3d7, v59
	;; [unrolled: 2-line block ×4, first 2 shown]
	ds_write2_b64 v51, v[32:33], v[42:43] offset1:99
	ds_write2_b64 v56, v[34:35], v[36:37] offset0:70 offset1:169
	ds_write2_b64 v57, v[40:41], v[38:39] offset0:140 offset1:239
	s_waitcnt lgkmcnt(0)
	s_barrier
	buffer_gl0_inv
	s_and_saveexec_b32 s1, vcc_lo
	s_cbranch_execz .LBB0_9
; %bb.8:
	v_add_co_u32 v62, s0, s14, v49
	v_add_co_ci_u32_e64 v63, null, s15, 0, s0
	v_add_nc_u32_e32 v97, 0x800, v49
	v_add_co_u32 v56, s0, 0x1000, v62
	v_add_co_ci_u32_e64 v57, s0, 0, v63, s0
	v_add_co_u32 v58, s0, 0x1290, v62
	v_add_co_ci_u32_e64 v59, s0, 0, v63, s0
	global_load_dwordx2 v[56:57], v[56:57], off offset:656
	v_add_co_u32 v60, s0, 0x1800, v62
	v_add_co_ci_u32_e64 v61, s0, 0, v63, s0
	s_clause 0x4
	global_load_dwordx2 v[76:77], v[58:59], off offset:432
	global_load_dwordx2 v[78:79], v[58:59], off offset:864
	;; [unrolled: 1-line block ×5, first 2 shown]
	v_add_co_u32 v58, s0, 0x2000, v62
	v_add_co_ci_u32_e64 v59, s0, 0, v63, s0
	s_clause 0x4
	global_load_dwordx2 v[86:87], v[60:61], off offset:1200
	global_load_dwordx2 v[88:89], v[60:61], off offset:1632
	;; [unrolled: 1-line block ×5, first 2 shown]
	ds_read_b64 v[58:59], v51
	v_add_nc_u32_e32 v98, 0xc00, v49
	s_waitcnt vmcnt(10) lgkmcnt(0)
	v_mul_f32_e32 v60, v59, v57
	v_mul_f32_e32 v61, v58, v57
	v_fma_f32 v60, v58, v56, -v60
	v_fmac_f32_e32 v61, v59, v56
	ds_write_b64 v51, v[60:61]
	ds_read2_b64 v[56:59], v49 offset0:54 offset1:108
	ds_read2_b64 v[60:63], v49 offset0:162 offset1:216
	;; [unrolled: 1-line block ×5, first 2 shown]
	s_waitcnt vmcnt(7) lgkmcnt(3)
	v_mul_f32_e32 v101, v61, v81
	v_mul_f32_e32 v99, v57, v77
	;; [unrolled: 1-line block ×6, first 2 shown]
	s_waitcnt vmcnt(6)
	v_mul_f32_e32 v102, v63, v83
	v_mul_f32_e32 v81, v62, v83
	s_waitcnt vmcnt(5) lgkmcnt(2)
	v_mul_f32_e32 v103, v65, v85
	v_mul_f32_e32 v83, v64, v85
	s_waitcnt vmcnt(4)
	v_mul_f32_e32 v104, v67, v87
	v_mul_f32_e32 v85, v66, v87
	s_waitcnt vmcnt(3) lgkmcnt(1)
	v_mul_f32_e32 v105, v69, v89
	v_mul_f32_e32 v87, v68, v89
	;; [unrolled: 6-line block ×3, first 2 shown]
	s_waitcnt vmcnt(0)
	v_mul_f32_e32 v108, v75, v95
	v_mul_f32_e32 v93, v74, v95
	v_fma_f32 v95, v56, v76, -v99
	v_fmac_f32_e32 v96, v57, v76
	v_fma_f32 v76, v58, v78, -v100
	v_fmac_f32_e32 v77, v59, v78
	;; [unrolled: 2-line block ×10, first 2 shown]
	ds_write2_b64 v49, v[95:96], v[76:77] offset0:54 offset1:108
	ds_write2_b64 v49, v[78:79], v[80:81] offset0:162 offset1:216
	;; [unrolled: 1-line block ×5, first 2 shown]
.LBB0_9:
	s_or_b32 exec_lo, exec_lo, s1
	s_waitcnt lgkmcnt(0)
	s_barrier
	buffer_gl0_inv
	s_and_saveexec_b32 s0, vcc_lo
	s_cbranch_execz .LBB0_11
; %bb.10:
	v_add_nc_u32_e32 v0, 0x400, v51
	v_add_nc_u32_e32 v1, 0x800, v51
	ds_read2_b64 v[32:35], v51 offset1:54
	ds_read2_b64 v[40:43], v51 offset0:108 offset1:162
	ds_read2_b64 v[36:39], v0 offset0:88 offset1:142
	;; [unrolled: 1-line block ×4, first 2 shown]
	ds_read_b64 v[45:46], v51 offset:4320
.LBB0_11:
	s_or_b32 exec_lo, exec_lo, s0
	s_waitcnt lgkmcnt(0)
	s_barrier
	buffer_gl0_inv
	s_and_saveexec_b32 s0, vcc_lo
	s_cbranch_execz .LBB0_13
; %bb.12:
	v_add_f32_e32 v62, v46, v35
	v_sub_f32_e32 v64, v34, v45
	v_add_f32_e32 v65, v3, v41
	v_sub_f32_e32 v66, v40, v2
	v_add_f32_e32 v67, v1, v43
	v_mul_f32_e32 v68, 0xbf75a155, v62
	v_sub_f32_e32 v74, v35, v46
	v_mul_f32_e32 v72, 0x3f575c64, v65
	v_sub_f32_e32 v69, v42, v0
	v_add_f32_e32 v70, v7, v37
	v_fmamk_f32 v56, v64, 0x3e903f40, v68
	v_mul_f32_e32 v75, 0xbf27a4f4, v67
	v_fmamk_f32 v57, v66, 0xbf0a6770, v72
	v_add_f32_e32 v76, v45, v34
	v_mul_f32_e32 v78, 0xbe903f40, v74
	v_add_f32_e32 v56, v33, v56
	v_sub_f32_e32 v79, v41, v3
	v_sub_f32_e32 v71, v36, v6
	v_add_f32_e32 v73, v5, v39
	v_mul_f32_e32 v77, 0x3ed4b147, v70
	v_fmamk_f32 v58, v69, 0x3f4178ce, v75
	v_add_f32_e32 v56, v57, v56
	v_add_f32_e32 v80, v2, v40
	v_fmamk_f32 v59, v76, 0xbf75a155, v78
	v_mul_f32_e32 v81, 0x3f0a6770, v79
	v_sub_f32_e32 v83, v43, v1
	v_fmamk_f32 v57, v71, 0xbf68dda4, v77
	v_add_f32_e32 v56, v58, v56
	v_mul_f32_e32 v82, 0xbe11bafb, v73
	v_sub_f32_e32 v84, v38, v4
	v_add_f32_e32 v58, v32, v59
	v_fmamk_f32 v59, v80, 0x3f575c64, v81
	v_add_f32_e32 v85, v0, v42
	v_mul_f32_e32 v86, 0xbf4178ce, v83
	v_add_f32_e32 v56, v57, v56
	v_fmamk_f32 v57, v84, 0x3f7d64f0, v82
	v_add_f32_e32 v58, v59, v58
	v_mul_f32_e32 v87, 0xbf27a4f4, v62
	v_fmamk_f32 v59, v85, 0xbf27a4f4, v86
	v_sub_f32_e32 v88, v37, v7
	v_add_f32_e32 v57, v57, v56
	v_mul_f32_e32 v89, 0xbe11bafb, v65
	v_add_f32_e32 v90, v6, v36
	v_add_f32_e32 v56, v59, v58
	v_fmamk_f32 v58, v64, 0x3f4178ce, v87
	v_mul_f32_e32 v91, 0x3f68dda4, v88
	v_sub_f32_e32 v92, v39, v5
	v_fmamk_f32 v59, v66, 0xbf7d64f0, v89
	v_mul_f32_e32 v93, 0x3f575c64, v67
	v_add_f32_e32 v58, v33, v58
	v_fmamk_f32 v60, v90, 0x3ed4b147, v91
	v_add_f32_e32 v94, v4, v38
	v_mul_f32_e32 v95, 0xbf7d64f0, v92
	v_mul_f32_e32 v96, 0xbf75a155, v70
	v_add_f32_e32 v58, v59, v58
	v_fmamk_f32 v59, v69, 0x3f0a6770, v93
	v_add_f32_e32 v56, v60, v56
	v_fmamk_f32 v60, v94, 0xbe11bafb, v95
	v_mul_f32_e32 v97, 0xbf4178ce, v74
	v_mul_f32_e32 v98, 0x3ed4b147, v73
	v_add_f32_e32 v58, v59, v58
	v_fmamk_f32 v59, v71, 0x3e903f40, v96
	v_add_f32_e32 v56, v60, v56
	v_fmamk_f32 v60, v76, 0xbf27a4f4, v97
	;; [unrolled: 6-line block ×4, first 2 shown]
	v_mul_f32_e32 v103, 0xbe903f40, v88
	v_fmamk_f32 v63, v66, 0xbe903f40, v102
	v_add_f32_e32 v58, v33, v58
	v_mul_f32_e32 v104, 0x3ed4b147, v67
	v_add_f32_e32 v60, v61, v60
	v_fmamk_f32 v61, v90, 0xbf75a155, v103
	v_mul_f32_e32 v105, 0x3f68dda4, v92
	v_add_f32_e32 v58, v63, v58
	v_fmamk_f32 v63, v69, 0xbf68dda4, v104
	;; [unrolled: 3-line block ×4, first 2 shown]
	v_mul_f32_e32 v113, 0xbf27a4f4, v65
	v_add_f32_e32 v58, v61, v60
	v_mul_f32_e32 v116, 0xbf75a155, v67
	v_mul_f32_e32 v118, 0xbe11bafb, v70
	v_add_f32_e32 v61, v108, v63
	v_fmamk_f32 v63, v84, 0x3f4178ce, v109
	v_mul_f32_e32 v108, 0x3ed4b147, v62
	v_fmamk_f32 v115, v66, 0x3f4178ce, v113
	v_mul_f32_e32 v120, 0x3f575c64, v73
	v_add_f32_e32 v35, v35, v33
	v_add_f32_e32 v61, v63, v61
	v_fmamk_f32 v63, v64, 0x3f68dda4, v108
	v_mul_f32_e32 v122, 0x3f575c64, v62
	v_add_f32_e32 v34, v34, v32
	v_add_f32_e32 v35, v41, v35
	v_mul_f32_e32 v65, 0x3ed4b147, v65
	v_add_f32_e32 v63, v33, v63
	v_mul_f32_e32 v67, 0xbe11bafb, v67
	v_add_f32_e32 v34, v40, v34
	v_add_f32_e32 v35, v43, v35
	v_fmamk_f32 v125, v66, 0x3f68dda4, v65
	v_add_f32_e32 v63, v115, v63
	v_fmamk_f32 v115, v69, 0xbe903f40, v116
	v_add_f32_e32 v34, v42, v34
	v_add_f32_e32 v35, v37, v35
	v_mul_f32_e32 v70, 0xbf27a4f4, v70
	v_mul_f32_e32 v41, 0xbf0a6770, v74
	v_add_f32_e32 v63, v115, v63
	v_fmamk_f32 v115, v71, 0xbf7d64f0, v118
	v_add_f32_e32 v35, v39, v35
	v_add_f32_e32 v34, v36, v34
	v_fmamk_f32 v40, v76, 0x3f575c64, v41
	v_mul_f32_e32 v43, 0xbf68dda4, v79
	v_add_f32_e32 v63, v115, v63
	v_fmamk_f32 v115, v84, 0xbf0a6770, v120
	v_mul_f32_e32 v73, 0xbf75a155, v73
	v_add_f32_e32 v35, v5, v35
	v_add_f32_e32 v34, v38, v34
	v_mul_f32_e32 v107, 0xbf7d64f0, v74
	v_add_f32_e32 v63, v115, v63
	v_fmamk_f32 v115, v64, 0x3f0a6770, v122
	v_mul_f32_e32 v119, 0xbf68dda4, v74
	v_add_f32_e32 v37, v32, v40
	v_fmamk_f32 v40, v80, 0x3ed4b147, v43
	;; [unrolled: 3-line block ×3, first 2 shown]
	v_add_f32_e32 v7, v7, v35
	v_add_f32_e32 v4, v4, v34
	v_fmac_f32_e32 v68, 0xbe903f40, v64
	v_add_f32_e32 v115, v125, v115
	v_fmamk_f32 v125, v69, 0x3f7d64f0, v67
	v_add_f32_e32 v37, v40, v37
	v_fmamk_f32 v39, v85, 0xbe11bafb, v42
	v_add_f32_e32 v1, v1, v7
	v_add_f32_e32 v4, v6, v4
	;; [unrolled: 1-line block ×3, first 2 shown]
	v_fmamk_f32 v125, v71, 0x3f4178ce, v70
	v_add_f32_e32 v6, v33, v68
	v_fmac_f32_e32 v72, 0x3f0a6770, v66
	v_add_f32_e32 v37, v39, v37
	v_mul_f32_e32 v38, 0xbe903f40, v92
	v_add_f32_e32 v74, v125, v115
	v_add_f32_e32 v1, v3, v1
	;; [unrolled: 1-line block ×4, first 2 shown]
	v_fmac_f32_e32 v75, 0xbf4178ce, v69
	v_add_f32_e32 v5, v36, v74
	v_mul_f32_e32 v36, 0xbf4178ce, v88
	v_fma_f32 v6, 0xbf75a155, v76, -v78
	v_add_f32_e32 v0, v2, v0
	v_add_f32_e32 v2, v75, v3
	v_fmac_f32_e32 v77, 0x3f68dda4, v71
	v_fmamk_f32 v34, v90, 0xbf27a4f4, v36
	v_add_f32_e32 v3, v32, v6
	v_fma_f32 v6, 0x3f575c64, v80, -v81
	v_fmac_f32_e32 v87, 0xbf4178ce, v64
	v_add_f32_e32 v2, v77, v2
	v_add_f32_e32 v7, v34, v37
	v_fmamk_f32 v34, v94, 0xbf75a155, v38
	v_fmac_f32_e32 v82, 0xbf7d64f0, v84
	v_add_f32_e32 v6, v6, v3
	v_fmac_f32_e32 v89, 0x3f7d64f0, v66
	v_fmac_f32_e32 v93, 0xbf0a6770, v69
	v_add_f32_e32 v4, v34, v7
	v_fma_f32 v7, 0xbf27a4f4, v85, -v86
	v_add_f32_e32 v34, v33, v87
	v_add_f32_e32 v3, v82, v2
	v_fma_f32 v2, 0xbf27a4f4, v76, -v97
	v_fma_f32 v35, 0xbe11bafb, v80, -v99
	v_add_f32_e32 v6, v7, v6
	v_fma_f32 v7, 0x3ed4b147, v90, -v91
	v_add_f32_e32 v34, v89, v34
	v_add_f32_e32 v2, v32, v2
	v_fmac_f32_e32 v96, 0xbe903f40, v71
	v_fma_f32 v37, 0x3f575c64, v85, -v101
	v_add_f32_e32 v6, v7, v6
	v_fma_f32 v7, 0xbe11bafb, v94, -v95
	v_add_f32_e32 v34, v93, v34
	v_add_f32_e32 v35, v35, v2
	v_fmac_f32_e32 v100, 0xbf7d64f0, v64
	v_fmac_f32_e32 v98, 0x3f68dda4, v84
	v_add_f32_e32 v2, v7, v6
	v_add_f32_e32 v6, v96, v34
	v_fmamk_f32 v60, v76, 0xbe11bafb, v107
	v_mul_f32_e32 v110, 0x3e903f40, v79
	v_add_f32_e32 v34, v37, v35
	v_fma_f32 v35, 0xbf75a155, v90, -v103
	v_add_f32_e32 v37, v33, v100
	v_fmac_f32_e32 v102, 0x3e903f40, v66
	v_add_f32_e32 v7, v98, v6
	v_fma_f32 v6, 0xbe11bafb, v76, -v107
	v_add_f32_e32 v60, v32, v60
	v_fmamk_f32 v111, v80, 0xbf75a155, v110
	v_mul_f32_e32 v112, 0x3f68dda4, v83
	v_add_f32_e32 v34, v35, v34
	v_fma_f32 v35, 0x3ed4b147, v94, -v105
	v_add_f32_e32 v37, v102, v37
	v_fmac_f32_e32 v104, 0x3f68dda4, v69
	v_add_f32_e32 v39, v32, v6
	v_fma_f32 v40, 0xbf75a155, v80, -v110
	v_fmac_f32_e32 v108, 0xbf68dda4, v64
	v_add_f32_e32 v60, v111, v60
	v_fmamk_f32 v111, v85, 0x3ed4b147, v112
	v_mul_f32_e32 v114, 0xbf0a6770, v88
	v_add_f32_e32 v6, v35, v34
	v_add_f32_e32 v34, v104, v37
	v_fmac_f32_e32 v106, 0xbf0a6770, v71
	v_add_f32_e32 v35, v40, v39
	v_fma_f32 v37, 0x3ed4b147, v85, -v112
	v_add_f32_e32 v39, v33, v108
	v_fmac_f32_e32 v113, 0xbf4178ce, v66
	v_add_f32_e32 v60, v111, v60
	v_fmamk_f32 v111, v90, 0x3f575c64, v114
	v_mul_f32_e32 v117, 0xbf4178ce, v92
	v_add_f32_e32 v34, v106, v34
	v_fmac_f32_e32 v109, 0xbf4178ce, v84
	v_add_f32_e32 v37, v37, v35
	v_fma_f32 v40, 0x3f575c64, v90, -v114
	v_add_f32_e32 v39, v113, v39
	v_fmac_f32_e32 v116, 0x3e903f40, v69
	v_add_f32_e32 v60, v111, v60
	v_fmamk_f32 v111, v94, 0xbf27a4f4, v117
	v_mul_f32_e32 v121, 0xbf4178ce, v79
	v_add_f32_e32 v35, v109, v34
	v_fma_f32 v34, 0x3ed4b147, v76, -v119
	v_add_f32_e32 v37, v40, v37
	v_fma_f32 v40, 0xbf27a4f4, v94, -v117
	v_add_f32_e32 v39, v116, v39
	v_fmac_f32_e32 v118, 0x3f7d64f0, v71
	v_add_f32_e32 v60, v111, v60
	v_fmamk_f32 v111, v76, 0x3ed4b147, v119
	v_mul_f32_e32 v123, 0x3e903f40, v83
	v_add_f32_e32 v1, v46, v1
	v_add_f32_e32 v0, v45, v0
	;; [unrolled: 1-line block ×3, first 2 shown]
	v_fma_f32 v46, 0xbf27a4f4, v80, -v121
	v_add_f32_e32 v34, v40, v37
	v_fmac_f32_e32 v122, 0xbf0a6770, v64
	v_add_f32_e32 v37, v118, v39
	v_fma_f32 v39, 0x3f575c64, v76, -v41
	v_add_f32_e32 v62, v32, v111
	v_fmamk_f32 v111, v80, 0xbf27a4f4, v121
	v_mul_f32_e32 v124, 0x3f7d64f0, v88
	v_add_f32_e32 v40, v46, v45
	v_fma_f32 v41, 0xbf75a155, v85, -v123
	v_add_f32_e32 v33, v33, v122
	v_fmac_f32_e32 v65, 0xbf68dda4, v66
	v_add_f32_e32 v32, v32, v39
	v_fma_f32 v39, 0x3ed4b147, v80, -v43
	v_add_f32_e32 v62, v111, v62
	v_fmamk_f32 v111, v85, 0xbf75a155, v123
	v_add_f32_e32 v40, v41, v40
	v_fma_f32 v41, 0xbe11bafb, v90, -v124
	v_add_f32_e32 v33, v65, v33
	v_fmac_f32_e32 v67, 0xbf7d64f0, v69
	v_add_f32_e32 v32, v39, v32
	v_fma_f32 v39, 0xbe11bafb, v85, -v42
	v_add_f32_e32 v62, v111, v62
	v_fmamk_f32 v111, v90, 0xbe11bafb, v124
	v_mul_f32_e32 v126, 0x3f0a6770, v92
	v_add_f32_e32 v40, v41, v40
	v_add_f32_e32 v33, v67, v33
	v_fmac_f32_e32 v70, 0xbf4178ce, v71
	v_add_f32_e32 v32, v39, v32
	v_fma_f32 v36, 0xbf27a4f4, v90, -v36
	v_mov_b32_e32 v41, 3
	v_add_f32_e32 v62, v111, v62
	v_fmamk_f32 v111, v94, 0x3f575c64, v126
	v_fmac_f32_e32 v120, 0x3f0a6770, v84
	v_fma_f32 v39, 0x3f575c64, v94, -v126
	v_add_f32_e32 v42, v70, v33
	v_fmac_f32_e32 v73, 0xbe903f40, v84
	v_add_f32_e32 v36, v36, v32
	v_fma_f32 v38, 0xbf75a155, v94, -v38
	v_lshlrev_b32_sdwa v41, v41, v52 dst_sel:DWORD dst_unused:UNUSED_PAD src0_sel:DWORD src1_sel:WORD_0
	v_add_f32_e32 v62, v111, v62
	v_add_f32_e32 v33, v120, v37
	;; [unrolled: 1-line block ×5, first 2 shown]
	ds_write2_b64 v41, v[0:1], v[4:5] offset1:1
	ds_write2_b64 v41, v[62:63], v[60:61] offset0:2 offset1:3
	ds_write2_b64 v41, v[58:59], v[56:57] offset0:4 offset1:5
	;; [unrolled: 1-line block ×4, first 2 shown]
	ds_write_b64 v41, v[36:37] offset:80
.LBB0_13:
	s_or_b32 exec_lo, exec_lo, s0
	v_add_nc_u32_e32 v36, 0x400, v51
	v_add_nc_u32_e32 v37, 0x800, v51
	s_waitcnt lgkmcnt(0)
	s_barrier
	buffer_gl0_inv
	ds_read2_b64 v[0:3], v36 offset0:70 offset1:169
	ds_read2_b64 v[4:7], v37 offset0:140 offset1:239
	ds_read2_b64 v[32:35], v51 offset1:99
	s_waitcnt lgkmcnt(0)
	s_barrier
	buffer_gl0_inv
	v_mul_f32_e32 v38, v13, v1
	v_mul_f32_e32 v13, v13, v0
	;; [unrolled: 1-line block ×8, first 2 shown]
	v_fmac_f32_e32 v38, v12, v0
	v_fma_f32 v0, v12, v1, -v13
	v_fmac_f32_e32 v39, v14, v4
	v_fma_f32 v1, v14, v5, -v15
	;; [unrolled: 2-line block ×4, first 2 shown]
	v_add_f32_e32 v3, v32, v38
	v_add_f32_e32 v4, v38, v39
	;; [unrolled: 1-line block ×5, first 2 shown]
	v_sub_f32_e32 v5, v0, v1
	v_add_f32_e32 v6, v33, v0
	v_sub_f32_e32 v9, v38, v39
	v_sub_f32_e32 v12, v2, v7
	v_add_f32_e32 v13, v35, v2
	v_add_f32_e32 v0, v3, v39
	v_fma_f32 v2, -0.5, v4, v32
	v_fma_f32 v3, -0.5, v8, v33
	v_add_f32_e32 v10, v34, v40
	v_sub_f32_e32 v15, v40, v41
	v_fma_f32 v34, -0.5, v11, v34
	v_fmac_f32_e32 v35, -0.5, v14
	v_add_f32_e32 v1, v6, v1
	v_fmamk_f32 v4, v5, 0xbf5db3d7, v2
	v_fmac_f32_e32 v2, 0x3f5db3d7, v5
	v_fmamk_f32 v5, v9, 0x3f5db3d7, v3
	v_fmac_f32_e32 v3, 0xbf5db3d7, v9
	v_add_f32_e32 v6, v10, v41
	v_fmamk_f32 v8, v12, 0xbf5db3d7, v34
	v_add_f32_e32 v7, v13, v7
	v_fmamk_f32 v9, v15, 0x3f5db3d7, v35
	v_fmac_f32_e32 v34, 0x3f5db3d7, v12
	v_fmac_f32_e32 v35, 0xbf5db3d7, v15
	ds_write2_b64 v54, v[0:1], v[4:5] offset1:11
	ds_write_b64 v54, v[2:3] offset:176
	ds_write2_b64 v53, v[6:7], v[8:9] offset1:11
	ds_write_b64 v53, v[34:35] offset:176
	s_waitcnt lgkmcnt(0)
	s_barrier
	buffer_gl0_inv
	ds_read2_b64 v[0:3], v51 offset1:99
	ds_read2_b64 v[4:7], v36 offset0:70 offset1:169
	ds_read2_b64 v[8:11], v37 offset0:140 offset1:239
	s_waitcnt lgkmcnt(0)
	s_barrier
	buffer_gl0_inv
	v_mul_f32_e32 v12, v21, v3
	v_mul_f32_e32 v14, v23, v5
	;; [unrolled: 1-line block ×7, first 2 shown]
	v_fmac_f32_e32 v14, v22, v4
	v_mul_f32_e32 v4, v19, v8
	v_fmac_f32_e32 v23, v18, v8
	v_fmac_f32_e32 v12, v20, v2
	v_fma_f32 v2, v20, v3, -v13
	v_fma_f32 v3, v22, v5, -v15
	v_fmac_f32_e32 v21, v16, v6
	v_fma_f32 v6, v16, v7, -v17
	v_mul_f32_e32 v7, v48, v10
	v_fma_f32 v4, v18, v9, -v4
	v_add_f32_e32 v8, v14, v23
	v_mul_f32_e32 v5, v48, v11
	v_add_f32_e32 v9, v0, v14
	v_fma_f32 v7, v47, v11, -v7
	v_fma_f32 v11, -0.5, v8, v0
	v_sub_f32_e32 v0, v3, v4
	v_fmac_f32_e32 v5, v47, v10
	v_add_f32_e32 v10, v3, v4
	v_add_f32_e32 v8, v9, v23
	;; [unrolled: 1-line block ×3, first 2 shown]
	v_fmamk_f32 v9, v0, 0xbf5db3d7, v11
	v_fmac_f32_e32 v11, 0x3f5db3d7, v0
	v_add_f32_e32 v0, v6, v7
	v_fma_f32 v13, -0.5, v10, v1
	v_sub_f32_e32 v1, v14, v23
	v_add_f32_e32 v14, v3, v4
	v_add_f32_e32 v3, v21, v5
	;; [unrolled: 1-line block ×3, first 2 shown]
	v_fmac_f32_e32 v2, -0.5, v0
	v_sub_f32_e32 v0, v21, v5
	v_fmamk_f32 v15, v1, 0x3f5db3d7, v13
	v_add_f32_e32 v10, v12, v21
	v_fmac_f32_e32 v12, -0.5, v3
	v_sub_f32_e32 v3, v6, v7
	v_fmac_f32_e32 v13, 0xbf5db3d7, v1
	v_fmamk_f32 v1, v0, 0x3f5db3d7, v2
	v_fmac_f32_e32 v2, 0xbf5db3d7, v0
	v_add_f32_e32 v6, v10, v5
	v_fmamk_f32 v5, v3, 0xbf5db3d7, v12
	v_fmac_f32_e32 v12, 0x3f5db3d7, v3
	v_mul_f32_e32 v10, 0xbf5db3d7, v1
	v_mul_f32_e32 v17, 0.5, v1
	v_mul_f32_e32 v16, 0xbf5db3d7, v2
	v_mul_f32_e32 v18, -0.5, v2
	v_add_f32_e32 v7, v4, v7
	v_fmac_f32_e32 v10, 0.5, v5
	v_fmac_f32_e32 v17, 0x3f5db3d7, v5
	v_fmac_f32_e32 v16, -0.5, v12
	v_fmac_f32_e32 v18, 0x3f5db3d7, v12
	v_add_f32_e32 v0, v8, v6
	v_add_f32_e32 v2, v9, v10
	;; [unrolled: 1-line block ×6, first 2 shown]
	v_sub_f32_e32 v6, v8, v6
	v_sub_f32_e32 v7, v14, v7
	;; [unrolled: 1-line block ×6, first 2 shown]
	ds_write2_b64 v55, v[0:1], v[2:3] offset1:33
	ds_write2_b64 v55, v[4:5], v[6:7] offset0:66 offset1:99
	ds_write2_b64 v55, v[8:9], v[10:11] offset0:132 offset1:165
	s_waitcnt lgkmcnt(0)
	s_barrier
	buffer_gl0_inv
	ds_read2_b64 v[0:3], v36 offset0:70 offset1:169
	ds_read2_b64 v[4:7], v37 offset0:140 offset1:239
	ds_read2_b64 v[8:11], v51 offset1:99
	s_waitcnt lgkmcnt(2)
	v_mul_f32_e32 v12, v29, v1
	v_mul_f32_e32 v13, v29, v0
	s_waitcnt lgkmcnt(1)
	v_mul_f32_e32 v14, v31, v5
	v_mul_f32_e32 v15, v27, v7
	v_fmac_f32_e32 v12, v28, v0
	v_mul_f32_e32 v0, v31, v4
	v_fma_f32 v1, v28, v1, -v13
	v_mul_f32_e32 v13, v25, v3
	v_fmac_f32_e32 v14, v30, v4
	v_mul_f32_e32 v4, v25, v2
	v_fma_f32 v5, v30, v5, -v0
	v_mul_f32_e32 v0, v27, v6
	v_fmac_f32_e32 v13, v24, v2
	v_add_f32_e32 v2, v12, v14
	v_fma_f32 v16, v24, v3, -v4
	s_waitcnt lgkmcnt(0)
	v_add_f32_e32 v3, v8, v12
	v_add_f32_e32 v4, v1, v5
	v_fmac_f32_e32 v15, v26, v6
	v_fma_f32 v7, v26, v7, -v0
	v_fma_f32 v0, -0.5, v2, v8
	v_sub_f32_e32 v6, v1, v5
	v_add_f32_e32 v2, v3, v14
	v_add_f32_e32 v3, v9, v1
	v_fma_f32 v1, -0.5, v4, v9
	v_sub_f32_e32 v8, v12, v14
	v_fmamk_f32 v4, v6, 0xbf5db3d7, v0
	v_fmac_f32_e32 v0, 0x3f5db3d7, v6
	v_add_f32_e32 v3, v3, v5
	v_add_f32_e32 v6, v13, v15
	v_fmamk_f32 v5, v8, 0x3f5db3d7, v1
	v_fmac_f32_e32 v1, 0xbf5db3d7, v8
	v_add_f32_e32 v8, v16, v7
	v_add_f32_e32 v9, v10, v13
	;; [unrolled: 1-line block ×3, first 2 shown]
	v_fma_f32 v10, -0.5, v6, v10
	v_sub_f32_e32 v12, v16, v7
	v_fmac_f32_e32 v11, -0.5, v8
	v_sub_f32_e32 v13, v13, v15
	v_add_f32_e32 v6, v9, v15
	v_add_f32_e32 v7, v14, v7
	v_fmamk_f32 v8, v12, 0xbf5db3d7, v10
	v_fmac_f32_e32 v10, 0x3f5db3d7, v12
	v_fmamk_f32 v9, v13, 0x3f5db3d7, v11
	v_fmac_f32_e32 v11, 0xbf5db3d7, v13
	ds_write2_b64 v51, v[2:3], v[6:7] offset1:99
	ds_write2_b64 v36, v[4:5], v[8:9] offset0:70 offset1:169
	ds_write2_b64 v37, v[0:1], v[10:11] offset0:140 offset1:239
	s_waitcnt lgkmcnt(0)
	s_barrier
	buffer_gl0_inv
	s_and_b32 exec_lo, exec_lo, vcc_lo
	s_cbranch_execz .LBB0_15
; %bb.14:
	v_add_co_u32 v2, s0, s14, v49
	v_add_co_ci_u32_e64 v3, null, s15, 0, s0
	s_clause 0x4
	global_load_dwordx2 v[20:21], v49, s[14:15]
	global_load_dwordx2 v[22:23], v49, s[14:15] offset:432
	global_load_dwordx2 v[24:25], v49, s[14:15] offset:864
	;; [unrolled: 1-line block ×4, first 2 shown]
	v_add_co_u32 v0, vcc_lo, 0x800, v2
	v_add_co_ci_u32_e32 v1, vcc_lo, 0, v3, vcc_lo
	v_add_co_u32 v2, vcc_lo, 0x1000, v2
	v_add_co_ci_u32_e32 v3, vcc_lo, 0, v3, vcc_lo
	s_clause 0x5
	global_load_dwordx2 v[30:31], v[0:1], off offset:112
	global_load_dwordx2 v[32:33], v[0:1], off offset:544
	;; [unrolled: 1-line block ×6, first 2 shown]
	v_mad_u64_u32 v[4:5], null, s4, v50, 0
	v_mad_u64_u32 v[0:1], null, s6, v44, 0
	ds_read_b64 v[42:43], v51
	v_add_nc_u32_e32 v12, 0x800, v49
	v_add_nc_u32_e32 v16, 0xc00, v49
	s_mul_i32 s2, s5, 0x1b0
	v_mov_b32_e32 v2, v5
	s_mul_hi_u32 s3, s4, 0x1b0
	ds_read2_b64 v[8:11], v12 offset0:14 offset1:68
	ds_read2_b64 v[12:15], v12 offset0:122 offset1:176
	;; [unrolled: 1-line block ×3, first 2 shown]
	v_mad_u64_u32 v[5:6], null, s7, v44, v[1:2]
	v_mad_u64_u32 v[2:3], null, s5, v50, v[2:3]
	s_mulk_i32 s4, 0x1b0
	s_mov_b32 s0, 0x2b18ff23
	s_add_i32 s3, s3, s2
	s_mov_b32 s1, 0x3f5b951e
	v_mov_b32_e32 v1, v5
	v_mov_b32_e32 v5, v2
	v_lshlrev_b64 v[6:7], 3, v[0:1]
	ds_read2_b64 v[0:3], v49 offset0:54 offset1:108
	v_lshlrev_b64 v[4:5], 3, v[4:5]
	v_add_co_u32 v6, vcc_lo, s12, v6
	v_add_co_ci_u32_e32 v7, vcc_lo, s13, v7, vcc_lo
	v_add_co_u32 v44, vcc_lo, v6, v4
	v_add_co_ci_u32_e32 v45, vcc_lo, v7, v5, vcc_lo
	ds_read2_b64 v[4:7], v49 offset0:162 offset1:216
	v_add_co_u32 v46, vcc_lo, v44, s4
	v_add_co_ci_u32_e32 v47, vcc_lo, s3, v45, vcc_lo
	v_add_co_u32 v50, vcc_lo, v46, s4
	v_add_co_ci_u32_e32 v51, vcc_lo, s3, v47, vcc_lo
	;; [unrolled: 2-line block ×7, first 2 shown]
	s_waitcnt vmcnt(10) lgkmcnt(5)
	v_mul_f32_e32 v60, v43, v21
	s_waitcnt vmcnt(9) lgkmcnt(1)
	v_mul_f32_e32 v61, v1, v23
	v_mul_f32_e32 v21, v42, v21
	;; [unrolled: 1-line block ×3, first 2 shown]
	s_waitcnt vmcnt(8)
	v_mul_f32_e32 v62, v3, v25
	s_waitcnt vmcnt(7) lgkmcnt(0)
	v_mul_f32_e32 v63, v5, v27
	s_waitcnt vmcnt(6)
	v_mul_f32_e32 v64, v7, v29
	v_fmac_f32_e32 v60, v42, v20
	v_mul_f32_e32 v27, v4, v27
	v_fmac_f32_e32 v61, v0, v22
	v_mul_f32_e32 v25, v2, v25
	v_mul_f32_e32 v29, v6, v29
	v_fma_f32 v20, v20, v43, -v21
	v_fma_f32 v21, v22, v1, -v23
	v_fmac_f32_e32 v62, v2, v24
	v_fmac_f32_e32 v63, v4, v26
	;; [unrolled: 1-line block ×3, first 2 shown]
	v_cvt_f64_f32_e32 v[0:1], v60
	s_waitcnt vmcnt(5)
	v_mul_f32_e32 v60, v9, v31
	v_mul_f32_e32 v31, v8, v31
	v_fma_f32 v26, v26, v5, -v27
	v_cvt_f64_f32_e32 v[4:5], v61
	s_waitcnt vmcnt(4)
	v_mul_f32_e32 v61, v11, v33
	v_mul_f32_e32 v33, v10, v33
	v_fma_f32 v22, v24, v3, -v25
	v_fma_f32 v42, v28, v7, -v29
	v_cvt_f64_f32_e32 v[2:3], v20
	v_cvt_f64_f32_e32 v[6:7], v21
	;; [unrolled: 1-line block ×3, first 2 shown]
	s_waitcnt vmcnt(3)
	v_mul_f32_e32 v62, v13, v35
	v_mul_f32_e32 v35, v12, v35
	v_cvt_f64_f32_e32 v[24:25], v63
	s_waitcnt vmcnt(2)
	v_mul_f32_e32 v63, v15, v37
	v_mul_f32_e32 v37, v14, v37
	v_cvt_f64_f32_e32 v[28:29], v64
	s_waitcnt vmcnt(1)
	v_mul_f32_e32 v64, v17, v39
	v_mul_f32_e32 v39, v16, v39
	s_waitcnt vmcnt(0)
	v_mul_f32_e32 v65, v19, v41
	v_mul_f32_e32 v41, v18, v41
	v_fmac_f32_e32 v60, v8, v30
	v_fma_f32 v30, v30, v9, -v31
	v_fmac_f32_e32 v61, v10, v32
	v_fma_f32 v31, v32, v11, -v33
	v_cvt_f64_f32_e32 v[22:23], v22
	v_fmac_f32_e32 v62, v12, v34
	v_fma_f32 v32, v34, v13, -v35
	v_cvt_f64_f32_e32 v[26:27], v26
	;; [unrolled: 3-line block ×3, first 2 shown]
	v_fmac_f32_e32 v64, v16, v38
	v_fma_f32 v36, v38, v17, -v39
	v_fmac_f32_e32 v65, v18, v40
	v_fma_f32 v40, v40, v19, -v41
	v_cvt_f64_f32_e32 v[8:9], v60
	v_cvt_f64_f32_e32 v[10:11], v30
	;; [unrolled: 1-line block ×12, first 2 shown]
	v_mul_f64 v[0:1], v[0:1], s[0:1]
	v_mul_f64 v[2:3], v[2:3], s[0:1]
	;; [unrolled: 1-line block ×22, first 2 shown]
	v_cvt_f32_f64_e32 v0, v[0:1]
	v_cvt_f32_f64_e32 v1, v[2:3]
	;; [unrolled: 1-line block ×22, first 2 shown]
	v_add_co_u32 v22, vcc_lo, v58, s4
	v_add_co_ci_u32_e32 v23, vcc_lo, s3, v59, vcc_lo
	v_add_co_u32 v24, vcc_lo, v22, s4
	v_add_co_ci_u32_e32 v25, vcc_lo, s3, v23, vcc_lo
	;; [unrolled: 2-line block ×3, first 2 shown]
	global_store_dwordx2 v[44:45], v[0:1], off
	global_store_dwordx2 v[46:47], v[2:3], off
	;; [unrolled: 1-line block ×11, first 2 shown]
.LBB0_15:
	s_endpgm
	.section	.rodata,"a",@progbits
	.p2align	6, 0x0
	.amdhsa_kernel bluestein_single_back_len594_dim1_sp_op_CI_CI
		.amdhsa_group_segment_fixed_size 4752
		.amdhsa_private_segment_fixed_size 0
		.amdhsa_kernarg_size 104
		.amdhsa_user_sgpr_count 6
		.amdhsa_user_sgpr_private_segment_buffer 1
		.amdhsa_user_sgpr_dispatch_ptr 0
		.amdhsa_user_sgpr_queue_ptr 0
		.amdhsa_user_sgpr_kernarg_segment_ptr 1
		.amdhsa_user_sgpr_dispatch_id 0
		.amdhsa_user_sgpr_flat_scratch_init 0
		.amdhsa_user_sgpr_private_segment_size 0
		.amdhsa_wavefront_size32 1
		.amdhsa_uses_dynamic_stack 0
		.amdhsa_system_sgpr_private_segment_wavefront_offset 0
		.amdhsa_system_sgpr_workgroup_id_x 1
		.amdhsa_system_sgpr_workgroup_id_y 0
		.amdhsa_system_sgpr_workgroup_id_z 0
		.amdhsa_system_sgpr_workgroup_info 0
		.amdhsa_system_vgpr_workitem_id 0
		.amdhsa_next_free_vgpr 127
		.amdhsa_next_free_sgpr 16
		.amdhsa_reserve_vcc 1
		.amdhsa_reserve_flat_scratch 0
		.amdhsa_float_round_mode_32 0
		.amdhsa_float_round_mode_16_64 0
		.amdhsa_float_denorm_mode_32 3
		.amdhsa_float_denorm_mode_16_64 3
		.amdhsa_dx10_clamp 1
		.amdhsa_ieee_mode 1
		.amdhsa_fp16_overflow 0
		.amdhsa_workgroup_processor_mode 1
		.amdhsa_memory_ordered 1
		.amdhsa_forward_progress 0
		.amdhsa_shared_vgpr_count 0
		.amdhsa_exception_fp_ieee_invalid_op 0
		.amdhsa_exception_fp_denorm_src 0
		.amdhsa_exception_fp_ieee_div_zero 0
		.amdhsa_exception_fp_ieee_overflow 0
		.amdhsa_exception_fp_ieee_underflow 0
		.amdhsa_exception_fp_ieee_inexact 0
		.amdhsa_exception_int_div_zero 0
	.end_amdhsa_kernel
	.text
.Lfunc_end0:
	.size	bluestein_single_back_len594_dim1_sp_op_CI_CI, .Lfunc_end0-bluestein_single_back_len594_dim1_sp_op_CI_CI
                                        ; -- End function
	.section	.AMDGPU.csdata,"",@progbits
; Kernel info:
; codeLenInByte = 9648
; NumSgprs: 18
; NumVgprs: 127
; ScratchSize: 0
; MemoryBound: 0
; FloatMode: 240
; IeeeMode: 1
; LDSByteSize: 4752 bytes/workgroup (compile time only)
; SGPRBlocks: 2
; VGPRBlocks: 15
; NumSGPRsForWavesPerEU: 18
; NumVGPRsForWavesPerEU: 127
; Occupancy: 8
; WaveLimiterHint : 1
; COMPUTE_PGM_RSRC2:SCRATCH_EN: 0
; COMPUTE_PGM_RSRC2:USER_SGPR: 6
; COMPUTE_PGM_RSRC2:TRAP_HANDLER: 0
; COMPUTE_PGM_RSRC2:TGID_X_EN: 1
; COMPUTE_PGM_RSRC2:TGID_Y_EN: 0
; COMPUTE_PGM_RSRC2:TGID_Z_EN: 0
; COMPUTE_PGM_RSRC2:TIDIG_COMP_CNT: 0
	.text
	.p2alignl 6, 3214868480
	.fill 48, 4, 3214868480
	.type	__hip_cuid_975b9d45dadc3a03,@object ; @__hip_cuid_975b9d45dadc3a03
	.section	.bss,"aw",@nobits
	.globl	__hip_cuid_975b9d45dadc3a03
__hip_cuid_975b9d45dadc3a03:
	.byte	0                               ; 0x0
	.size	__hip_cuid_975b9d45dadc3a03, 1

	.ident	"AMD clang version 19.0.0git (https://github.com/RadeonOpenCompute/llvm-project roc-6.4.0 25133 c7fe45cf4b819c5991fe208aaa96edf142730f1d)"
	.section	".note.GNU-stack","",@progbits
	.addrsig
	.addrsig_sym __hip_cuid_975b9d45dadc3a03
	.amdgpu_metadata
---
amdhsa.kernels:
  - .args:
      - .actual_access:  read_only
        .address_space:  global
        .offset:         0
        .size:           8
        .value_kind:     global_buffer
      - .actual_access:  read_only
        .address_space:  global
        .offset:         8
        .size:           8
        .value_kind:     global_buffer
      - .actual_access:  read_only
        .address_space:  global
        .offset:         16
        .size:           8
        .value_kind:     global_buffer
      - .actual_access:  read_only
        .address_space:  global
        .offset:         24
        .size:           8
        .value_kind:     global_buffer
      - .actual_access:  read_only
        .address_space:  global
        .offset:         32
        .size:           8
        .value_kind:     global_buffer
      - .offset:         40
        .size:           8
        .value_kind:     by_value
      - .address_space:  global
        .offset:         48
        .size:           8
        .value_kind:     global_buffer
      - .address_space:  global
        .offset:         56
        .size:           8
        .value_kind:     global_buffer
      - .address_space:  global
        .offset:         64
        .size:           8
        .value_kind:     global_buffer
      - .address_space:  global
        .offset:         72
        .size:           8
        .value_kind:     global_buffer
      - .offset:         80
        .size:           4
        .value_kind:     by_value
      - .address_space:  global
        .offset:         88
        .size:           8
        .value_kind:     global_buffer
      - .address_space:  global
        .offset:         96
        .size:           8
        .value_kind:     global_buffer
    .group_segment_fixed_size: 4752
    .kernarg_segment_align: 8
    .kernarg_segment_size: 104
    .language:       OpenCL C
    .language_version:
      - 2
      - 0
    .max_flat_workgroup_size: 99
    .name:           bluestein_single_back_len594_dim1_sp_op_CI_CI
    .private_segment_fixed_size: 0
    .sgpr_count:     18
    .sgpr_spill_count: 0
    .symbol:         bluestein_single_back_len594_dim1_sp_op_CI_CI.kd
    .uniform_work_group_size: 1
    .uses_dynamic_stack: false
    .vgpr_count:     127
    .vgpr_spill_count: 0
    .wavefront_size: 32
    .workgroup_processor_mode: 1
amdhsa.target:   amdgcn-amd-amdhsa--gfx1030
amdhsa.version:
  - 1
  - 2
...

	.end_amdgpu_metadata
